;; amdgpu-corpus repo=zjin-lcf/HeCBench kind=compiled arch=gfx1250 opt=O3
	.amdgcn_target "amdgcn-amd-amdhsa--gfx1250"
	.amdhsa_code_object_version 6
	.text
	.protected	_Z6rotateif15HIP_vector_typeIfLj3EEPS0_ ; -- Begin function _Z6rotateif15HIP_vector_typeIfLj3EEPS0_
	.globl	_Z6rotateif15HIP_vector_typeIfLj3EEPS0_
	.p2align	8
	.type	_Z6rotateif15HIP_vector_typeIfLj3EEPS0_,@function
_Z6rotateif15HIP_vector_typeIfLj3EEPS0_: ; @_Z6rotateif15HIP_vector_typeIfLj3EEPS0_
; %bb.0:
	s_clause 0x1
	s_load_b32 s2, s[0:1], 0x2c
	s_load_b128 s[4:7], s[0:1], 0x0
	s_bfe_u32 s3, ttmp6, 0x4000c
	s_and_b32 s8, ttmp6, 15
	s_add_co_i32 s3, s3, 1
	s_getreg_b32 s9, hwreg(HW_REG_IB_STS2, 6, 4)
	s_mul_i32 s3, ttmp9, s3
	s_delay_alu instid0(SALU_CYCLE_1) | instskip(SKIP_4) | instid1(SALU_CYCLE_1)
	s_add_co_i32 s8, s8, s3
	s_wait_kmcnt 0x0
	s_and_b32 s2, s2, 0xffff
	s_cmp_eq_u32 s9, 0
	s_cselect_b32 s3, ttmp9, s8
	v_mad_u32 v0, s3, s2, v0
	s_mov_b32 s2, exec_lo
	s_delay_alu instid0(VALU_DEP_1)
	v_cmpx_gt_i32_e64 s4, v0
	s_cbranch_execz .LBB0_6
; %bb.1:
	s_load_b32 s2, s[0:1], 0x10
	s_and_b32 s3, s5, 0x7fffffff
	s_delay_alu instid0(SALU_CYCLE_1)
	s_cmp_nlt_f32 s3, 0x48000000
	s_cbranch_scc0 .LBB0_3
; %bb.2:
	s_and_b32 s4, s3, 0x7fffff
	s_mov_b32 s9, 0
	s_or_b32 s8, s4, 0x800000
	s_mov_b64 s[10:11], 0xfe5163ab
	s_mov_b32 s13, s9
	s_mul_u64 s[10:11], s[8:9], s[10:11]
	s_mul_u64 s[14:15], s[8:9], 0x3c439041
	s_mov_b32 s12, s11
	s_mov_b64 s[16:17], 0xdb629599
	s_add_nc_u64 s[12:13], s[12:13], s[14:15]
	s_mov_b32 s15, s9
	s_mov_b32 s14, s13
	s_mul_u64 s[16:17], s[8:9], s[16:17]
	s_mov_b64 s[18:19], 0xf534ddc0
	s_add_nc_u64 s[14:15], s[14:15], s[16:17]
	s_mov_b32 s17, s9
	s_mov_b32 s16, s15
	s_mul_u64 s[18:19], s[8:9], s[18:19]
	;; [unrolled: 5-line block ×3, first 2 shown]
	s_lshr_b32 s4, s3, 23
	s_add_nc_u64 s[18:19], s[18:19], s[20:21]
	s_mov_b32 s21, s9
	s_mov_b32 s20, s19
	s_mul_u64 s[22:23], s[8:9], 0x4e441529
	s_addk_co_i32 s4, 0xff88
	s_add_nc_u64 s[20:21], s[20:21], s[22:23]
	s_mov_b64 s[24:25], 0xa2f9836e
	s_cmp_gt_u32 s4, 63
	s_mov_b32 s22, s21
	s_mov_b32 s23, s9
	s_mul_u64 s[24:25], s[8:9], s[24:25]
	s_cselect_b32 s8, s14, s18
	s_cselect_b32 s13, s10, s14
	s_add_nc_u64 s[10:11], s[22:23], s[24:25]
	s_cselect_b32 s14, 0xffffffc0, 0
	s_cselect_b32 s12, s12, s16
	s_cselect_b32 s15, s16, s20
	s_cselect_b32 s10, s18, s10
	s_cselect_b32 s11, s20, s11
	s_add_co_i32 s14, s14, s4
	s_delay_alu instid0(SALU_CYCLE_1)
	s_cmp_gt_u32 s14, 31
	s_cselect_b32 s4, 0xffffffe0, 0
	s_cselect_b32 s16, s15, s10
	;; [unrolled: 1-line block ×6, first 2 shown]
	s_add_co_i32 s4, s4, s14
	s_delay_alu instid0(SALU_CYCLE_1)
	s_cmp_gt_u32 s4, 31
	s_cselect_b32 s13, 0xffffffe0, 0
	s_cselect_b32 s10, s16, s10
	;; [unrolled: 1-line block ×5, first 2 shown]
	s_add_co_i32 s13, s13, s4
	s_delay_alu instid0(SALU_CYCLE_1) | instskip(SKIP_3) | instid1(VALU_DEP_1)
	s_sub_co_i32 s4, 32, s13
	s_cmp_eq_u32 s13, 0
	v_mov_b32_e32 v1, s4
	s_cselect_b32 s12, -1, 0
	v_alignbit_b32 v2, s10, s14, v1
	v_alignbit_b32 v3, s14, s11, v1
	;; [unrolled: 1-line block ×3, first 2 shown]
	s_delay_alu instid0(VALU_DEP_3) | instskip(NEXT) | instid1(VALU_DEP_3)
	v_readfirstlane_b32 s4, v2
	v_cndmask_b32_e64 v2, v3, s14, s12
	s_delay_alu instid0(VALU_DEP_3)
	v_cndmask_b32_e64 v1, v1, s11, s12
	s_cselect_b32 s10, s10, s4
	s_delay_alu instid0(VALU_DEP_2) | instid1(SALU_CYCLE_1)
	v_alignbit_b32 v3, s10, v2, 30
	s_bfe_u32 s11, s10, 0x1001d
	s_delay_alu instid0(VALU_DEP_2) | instskip(SKIP_3) | instid1(VALU_DEP_3)
	v_alignbit_b32 v2, v2, v1, 30
	s_sub_co_i32 s12, 0, s11
	v_alignbit_b32 v1, v1, s8, 30
	v_readfirstlane_b32 s4, v3
	v_xor_b32_e32 v2, s12, v2
	s_delay_alu instid0(VALU_DEP_3) | instskip(SKIP_1) | instid1(SALU_CYCLE_1)
	v_xor_b32_e32 v1, s12, v1
	s_xor_b32 s4, s4, s12
	s_clz_i32_u32 s8, s4
	s_delay_alu instid0(SALU_CYCLE_1) | instskip(NEXT) | instid1(SALU_CYCLE_1)
	s_min_u32 s8, s8, 32
	s_sub_co_i32 s12, 31, s8
	s_lshl_b32 s15, s8, 23
	v_alignbit_b32 v3, s4, v2, s12
	v_alignbit_b32 v1, v2, v1, s12
	s_lshr_b32 s4, s10, 29
	s_delay_alu instid0(SALU_CYCLE_1) | instskip(NEXT) | instid1(VALU_DEP_2)
	s_lshl_b32 s4, s4, 31
	v_readfirstlane_b32 s13, v3
	s_delay_alu instid0(VALU_DEP_2)
	v_alignbit_b32 v2, v3, v1, 9
	s_or_b32 s14, s4, 0.5
	s_or_b32 s4, s4, 0x33000000
	s_sub_co_i32 s14, s14, s15
	s_lshr_b32 s13, s13, 9
	v_readfirstlane_b32 s12, v2
	s_or_b32 s13, s13, s14
	s_delay_alu instid0(SALU_CYCLE_1) | instskip(SKIP_1) | instid1(SALU_CYCLE_1)
	s_mul_f32 s15, s13, 0x3fc90fda
	s_clz_i32_u32 s12, s12
	s_min_u32 s12, s12, 32
	s_delay_alu instid0(SALU_CYCLE_1)
	s_not_b32 s14, s12
	s_add_co_i32 s12, s12, s8
	v_alignbit_b32 v1, v2, v1, s14
	s_xor_b32 s14, s15, 0x80000000
	s_lshl_b32 s12, s12, 23
	s_fmamk_f32 s14, s13, 0x3fc90fda, s14
	s_sub_co_i32 s4, s4, s12
	v_readfirstlane_b32 s8, v1
	s_delay_alu instid0(SALU_CYCLE_1) | instskip(SKIP_1) | instid1(SALU_CYCLE_1)
	s_fmamk_f32 s12, s13, 0x33a22168, s14
	s_lshr_b32 s8, s8, 9
	s_or_b32 s4, s4, s8
	s_lshr_b32 s8, s10, 30
	s_fmamk_f32 s4, s4, 0x3fc90fda, s12
	s_add_co_i32 s8, s11, s8
	s_delay_alu instid0(SALU_CYCLE_2)
	s_add_f32 s4, s15, s4
	s_cbranch_execz .LBB0_4
	s_branch .LBB0_5
.LBB0_3:
                                        ; implicit-def: $sgpr8
                                        ; implicit-def: $sgpr4
.LBB0_4:
	s_mul_f32 s4, s3, 0x3f22f983
	s_delay_alu instid0(SALU_CYCLE_3) | instskip(NEXT) | instid1(SALU_CYCLE_3)
	s_rndne_f32 s8, s4
	s_fmamk_f32 s4, s8, 0xbfc90fda, s3
	s_delay_alu instid0(SALU_CYCLE_3) | instskip(NEXT) | instid1(SALU_CYCLE_3)
	s_fmamk_f32 s4, s8, 0xb3a22168, s4
	s_fmamk_f32 s4, s8, 0xa7c234c4, s4
	s_cvt_i32_f32 s8, s8
.LBB0_5:
	s_wait_xcnt 0x0
	s_load_b64 s[0:1], s[0:1], 0x18
	s_mul_f32 s9, s4, s4
	s_mov_b32 s10, 0xb94c1982
	s_mov_b32 s11, 0x37d75334
	v_mov_b64_e32 v[6:7], s[6:7]
	s_fmaak_f32 s10, s9, s10, 0x3c0881c4
	s_fmaak_f32 s11, s9, s11, 0xbab64f3b
	s_mul_f32 s13, s6, s7
	v_dual_mov_b32 v8, s7 :: v_dual_mov_b32 v9, s6
	s_fmaak_f32 s10, s9, s10, 0xbe2aaa9d
	s_fmaak_f32 s11, s9, s11, 0x3d2aabf7
	s_lshl_b32 s12, s8, 30
	s_and_b32 s8, s8, 1
	s_mul_f32 s10, s9, s10
	s_fmaak_f32 s6, s9, s11, 0xbf000004
	s_xor_b32 s3, s3, s5
	s_and_b32 s7, s12, 0x80000000
	s_fmac_f32 s4, s4, s10
	s_fmaak_f32 s6, s9, s6, 0x3f800000
	s_wait_kmcnt 0x0
	global_load_b96 v[2:4], v0, s[0:1] scale_offset
	v_cmp_class_f32_e64 s5, s5, 0x1f8
	s_xor_b32 s9, s4, 0x80000000
	s_cmp_eq_u32 s8, 0
	v_pk_mul_f32 v[10:11], v[6:7], v[6:7]
	s_cselect_b32 s4, s4, s6
	v_pk_mul_f32 v[6:7], v[6:7], s[2:3] op_sel_hi:[1,0]
	s_cselect_b32 s6, s6, s9
	s_xor_b32 s3, s3, s4
	s_xor_b32 s4, s6, s7
	;; [unrolled: 1-line block ×3, first 2 shown]
	s_and_b32 s5, s5, exec_lo
	s_cselect_b32 s4, s4, 0x7fc00000
	s_cselect_b32 s6, s3, 0x7fc00000
	s_sub_f32 s8, 1.0, s4
	s_mul_f32 s14, s2, s2
	s_mul_f32 s2, s2, s6
	v_pk_mul_f32 v[8:9], v[8:9], s[6:7] op_sel_hi:[1,0]
	s_mul_f32 s5, s13, s8
	s_mov_b32 s3, s4
	s_xor_b32 s6, s2, 0x80000000
	s_fmac_f32 s3, s14, s8
	v_pk_fma_f32 v[10:11], v[10:11], s[8:9], s[4:5] op_sel_hi:[1,0,0]
	v_pk_fma_f32 v[12:13], v[6:7], s[8:9], v[8:9] op_sel_hi:[1,0,1]
	s_fmac_f32 s6, s13, s8
	s_add_f32 s2, s5, s2
	v_pk_fma_f32 v[6:7], v[6:7], s[8:9], v[8:9] op_sel_hi:[1,0,1] neg_lo:[0,0,1] neg_hi:[0,0,1]
	s_delay_alu instid0(SALU_CYCLE_2) | instskip(SKIP_4) | instid1(VALU_DEP_3)
	v_dual_mov_b32 v15, s6 :: v_dual_mov_b32 v14, s2
	s_wait_loadcnt 0x0
	v_pk_mul_f32 v[10:11], v[2:3], v[10:11]
	v_mul_f32_e32 v8, v2, v12
	v_dual_mov_b32 v12, v6 :: v_dual_mov_b32 v6, v4
	v_pk_fma_f32 v[10:11], v[2:3], v[14:15], v[10:11] op_sel:[1,0,0] op_sel_hi:[0,1,1]
	s_delay_alu instid0(VALU_DEP_3) | instskip(NEXT) | instid1(VALU_DEP_2)
	v_fmac_f32_e32 v8, v3, v7
	v_pk_fma_f32 v[6:7], v[6:7], v[12:13], v[10:11] op_sel_hi:[0,1,1]
	s_delay_alu instid0(VALU_DEP_2)
	v_fmac_f32_e32 v8, s3, v4
	global_store_b96 v0, v[6:8], s[0:1] scale_offset
.LBB0_6:
	s_endpgm
	.section	.rodata,"a",@progbits
	.p2align	6, 0x0
	.amdhsa_kernel _Z6rotateif15HIP_vector_typeIfLj3EEPS0_
		.amdhsa_group_segment_fixed_size 0
		.amdhsa_private_segment_fixed_size 0
		.amdhsa_kernarg_size 288
		.amdhsa_user_sgpr_count 2
		.amdhsa_user_sgpr_dispatch_ptr 0
		.amdhsa_user_sgpr_queue_ptr 0
		.amdhsa_user_sgpr_kernarg_segment_ptr 1
		.amdhsa_user_sgpr_dispatch_id 0
		.amdhsa_user_sgpr_kernarg_preload_length 0
		.amdhsa_user_sgpr_kernarg_preload_offset 0
		.amdhsa_user_sgpr_private_segment_size 0
		.amdhsa_wavefront_size32 1
		.amdhsa_uses_dynamic_stack 0
		.amdhsa_enable_private_segment 0
		.amdhsa_system_sgpr_workgroup_id_x 1
		.amdhsa_system_sgpr_workgroup_id_y 0
		.amdhsa_system_sgpr_workgroup_id_z 0
		.amdhsa_system_sgpr_workgroup_info 0
		.amdhsa_system_vgpr_workitem_id 0
		.amdhsa_next_free_vgpr 16
		.amdhsa_next_free_sgpr 26
		.amdhsa_named_barrier_count 0
		.amdhsa_reserve_vcc 0
		.amdhsa_float_round_mode_32 0
		.amdhsa_float_round_mode_16_64 0
		.amdhsa_float_denorm_mode_32 3
		.amdhsa_float_denorm_mode_16_64 3
		.amdhsa_fp16_overflow 0
		.amdhsa_memory_ordered 1
		.amdhsa_forward_progress 1
		.amdhsa_inst_pref_size 10
		.amdhsa_round_robin_scheduling 0
		.amdhsa_exception_fp_ieee_invalid_op 0
		.amdhsa_exception_fp_denorm_src 0
		.amdhsa_exception_fp_ieee_div_zero 0
		.amdhsa_exception_fp_ieee_overflow 0
		.amdhsa_exception_fp_ieee_underflow 0
		.amdhsa_exception_fp_ieee_inexact 0
		.amdhsa_exception_int_div_zero 0
	.end_amdhsa_kernel
	.text
.Lfunc_end0:
	.size	_Z6rotateif15HIP_vector_typeIfLj3EEPS0_, .Lfunc_end0-_Z6rotateif15HIP_vector_typeIfLj3EEPS0_
                                        ; -- End function
	.set _Z6rotateif15HIP_vector_typeIfLj3EEPS0_.num_vgpr, 16
	.set _Z6rotateif15HIP_vector_typeIfLj3EEPS0_.num_agpr, 0
	.set _Z6rotateif15HIP_vector_typeIfLj3EEPS0_.numbered_sgpr, 26
	.set _Z6rotateif15HIP_vector_typeIfLj3EEPS0_.num_named_barrier, 0
	.set _Z6rotateif15HIP_vector_typeIfLj3EEPS0_.private_seg_size, 0
	.set _Z6rotateif15HIP_vector_typeIfLj3EEPS0_.uses_vcc, 0
	.set _Z6rotateif15HIP_vector_typeIfLj3EEPS0_.uses_flat_scratch, 0
	.set _Z6rotateif15HIP_vector_typeIfLj3EEPS0_.has_dyn_sized_stack, 0
	.set _Z6rotateif15HIP_vector_typeIfLj3EEPS0_.has_recursion, 0
	.set _Z6rotateif15HIP_vector_typeIfLj3EEPS0_.has_indirect_call, 0
	.section	.AMDGPU.csdata,"",@progbits
; Kernel info:
; codeLenInByte = 1204
; TotalNumSgprs: 26
; NumVgprs: 16
; ScratchSize: 0
; MemoryBound: 0
; FloatMode: 240
; IeeeMode: 1
; LDSByteSize: 0 bytes/workgroup (compile time only)
; SGPRBlocks: 0
; VGPRBlocks: 0
; NumSGPRsForWavesPerEU: 26
; NumVGPRsForWavesPerEU: 16
; NamedBarCnt: 0
; Occupancy: 16
; WaveLimiterHint : 0
; COMPUTE_PGM_RSRC2:SCRATCH_EN: 0
; COMPUTE_PGM_RSRC2:USER_SGPR: 2
; COMPUTE_PGM_RSRC2:TRAP_HANDLER: 0
; COMPUTE_PGM_RSRC2:TGID_X_EN: 1
; COMPUTE_PGM_RSRC2:TGID_Y_EN: 0
; COMPUTE_PGM_RSRC2:TGID_Z_EN: 0
; COMPUTE_PGM_RSRC2:TIDIG_COMP_CNT: 0
	.text
	.protected	_Z7rotate2if15HIP_vector_typeIfLj3EEPS_IfLj4EE ; -- Begin function _Z7rotate2if15HIP_vector_typeIfLj3EEPS_IfLj4EE
	.globl	_Z7rotate2if15HIP_vector_typeIfLj3EEPS_IfLj4EE
	.p2align	8
	.type	_Z7rotate2if15HIP_vector_typeIfLj3EEPS_IfLj4EE,@function
_Z7rotate2if15HIP_vector_typeIfLj3EEPS_IfLj4EE: ; @_Z7rotate2if15HIP_vector_typeIfLj3EEPS_IfLj4EE
; %bb.0:
	s_clause 0x1
	s_load_b32 s2, s[0:1], 0x2c
	s_load_b128 s[4:7], s[0:1], 0x0
	s_bfe_u32 s3, ttmp6, 0x4000c
	s_and_b32 s8, ttmp6, 15
	s_add_co_i32 s3, s3, 1
	s_getreg_b32 s9, hwreg(HW_REG_IB_STS2, 6, 4)
	s_mul_i32 s3, ttmp9, s3
	s_delay_alu instid0(SALU_CYCLE_1) | instskip(SKIP_4) | instid1(SALU_CYCLE_1)
	s_add_co_i32 s8, s8, s3
	s_wait_kmcnt 0x0
	s_and_b32 s2, s2, 0xffff
	s_cmp_eq_u32 s9, 0
	s_cselect_b32 s3, ttmp9, s8
	v_mad_u32 v0, s3, s2, v0
	s_mov_b32 s2, exec_lo
	s_delay_alu instid0(VALU_DEP_1)
	v_cmpx_gt_i32_e64 s4, v0
	s_cbranch_execz .LBB1_6
; %bb.1:
	s_load_b32 s2, s[0:1], 0x10
	s_and_b32 s3, s5, 0x7fffffff
	s_delay_alu instid0(SALU_CYCLE_1)
	s_cmp_nlt_f32 s3, 0x48000000
	s_cbranch_scc0 .LBB1_3
; %bb.2:
	s_and_b32 s4, s3, 0x7fffff
	s_mov_b32 s9, 0
	s_or_b32 s8, s4, 0x800000
	s_mov_b64 s[10:11], 0xfe5163ab
	s_mov_b32 s13, s9
	s_mul_u64 s[10:11], s[8:9], s[10:11]
	s_mul_u64 s[14:15], s[8:9], 0x3c439041
	s_mov_b32 s12, s11
	s_mov_b64 s[16:17], 0xdb629599
	s_add_nc_u64 s[12:13], s[12:13], s[14:15]
	s_mov_b32 s15, s9
	s_mov_b32 s14, s13
	s_mul_u64 s[16:17], s[8:9], s[16:17]
	s_mov_b64 s[18:19], 0xf534ddc0
	s_add_nc_u64 s[14:15], s[14:15], s[16:17]
	s_mov_b32 s17, s9
	s_mov_b32 s16, s15
	s_mul_u64 s[18:19], s[8:9], s[18:19]
	;; [unrolled: 5-line block ×3, first 2 shown]
	s_lshr_b32 s4, s3, 23
	s_add_nc_u64 s[18:19], s[18:19], s[20:21]
	s_mov_b32 s21, s9
	s_mov_b32 s20, s19
	s_mul_u64 s[22:23], s[8:9], 0x4e441529
	s_addk_co_i32 s4, 0xff88
	s_add_nc_u64 s[20:21], s[20:21], s[22:23]
	s_mov_b64 s[24:25], 0xa2f9836e
	s_cmp_gt_u32 s4, 63
	s_mov_b32 s22, s21
	s_mov_b32 s23, s9
	s_mul_u64 s[24:25], s[8:9], s[24:25]
	s_cselect_b32 s8, s14, s18
	s_cselect_b32 s13, s10, s14
	s_add_nc_u64 s[10:11], s[22:23], s[24:25]
	s_cselect_b32 s14, 0xffffffc0, 0
	s_cselect_b32 s12, s12, s16
	;; [unrolled: 1-line block ×5, first 2 shown]
	s_add_co_i32 s14, s14, s4
	s_delay_alu instid0(SALU_CYCLE_1)
	s_cmp_gt_u32 s14, 31
	s_cselect_b32 s4, 0xffffffe0, 0
	s_cselect_b32 s16, s15, s10
	;; [unrolled: 1-line block ×6, first 2 shown]
	s_add_co_i32 s4, s4, s14
	s_delay_alu instid0(SALU_CYCLE_1)
	s_cmp_gt_u32 s4, 31
	s_cselect_b32 s13, 0xffffffe0, 0
	s_cselect_b32 s10, s16, s10
	;; [unrolled: 1-line block ×5, first 2 shown]
	s_add_co_i32 s13, s13, s4
	s_delay_alu instid0(SALU_CYCLE_1) | instskip(SKIP_3) | instid1(VALU_DEP_1)
	s_sub_co_i32 s4, 32, s13
	s_cmp_eq_u32 s13, 0
	v_mov_b32_e32 v1, s4
	s_cselect_b32 s12, -1, 0
	v_alignbit_b32 v2, s10, s14, v1
	v_alignbit_b32 v3, s14, s11, v1
	;; [unrolled: 1-line block ×3, first 2 shown]
	s_delay_alu instid0(VALU_DEP_3) | instskip(NEXT) | instid1(VALU_DEP_3)
	v_readfirstlane_b32 s4, v2
	v_cndmask_b32_e64 v2, v3, s14, s12
	s_delay_alu instid0(VALU_DEP_3)
	v_cndmask_b32_e64 v1, v1, s11, s12
	s_cselect_b32 s10, s10, s4
	s_delay_alu instid0(VALU_DEP_2) | instid1(SALU_CYCLE_1)
	v_alignbit_b32 v3, s10, v2, 30
	s_bfe_u32 s11, s10, 0x1001d
	s_delay_alu instid0(VALU_DEP_2) | instskip(SKIP_3) | instid1(VALU_DEP_3)
	v_alignbit_b32 v2, v2, v1, 30
	s_sub_co_i32 s12, 0, s11
	v_alignbit_b32 v1, v1, s8, 30
	v_readfirstlane_b32 s4, v3
	v_xor_b32_e32 v2, s12, v2
	s_delay_alu instid0(VALU_DEP_3) | instskip(SKIP_1) | instid1(SALU_CYCLE_1)
	v_xor_b32_e32 v1, s12, v1
	s_xor_b32 s4, s4, s12
	s_clz_i32_u32 s8, s4
	s_delay_alu instid0(SALU_CYCLE_1) | instskip(NEXT) | instid1(SALU_CYCLE_1)
	s_min_u32 s8, s8, 32
	s_sub_co_i32 s12, 31, s8
	s_lshl_b32 s15, s8, 23
	v_alignbit_b32 v3, s4, v2, s12
	v_alignbit_b32 v1, v2, v1, s12
	s_lshr_b32 s4, s10, 29
	s_delay_alu instid0(SALU_CYCLE_1) | instskip(NEXT) | instid1(VALU_DEP_2)
	s_lshl_b32 s4, s4, 31
	v_readfirstlane_b32 s13, v3
	s_delay_alu instid0(VALU_DEP_2)
	v_alignbit_b32 v2, v3, v1, 9
	s_or_b32 s14, s4, 0.5
	s_or_b32 s4, s4, 0x33000000
	s_sub_co_i32 s14, s14, s15
	s_lshr_b32 s13, s13, 9
	v_readfirstlane_b32 s12, v2
	s_or_b32 s13, s13, s14
	s_delay_alu instid0(SALU_CYCLE_1) | instskip(SKIP_1) | instid1(SALU_CYCLE_1)
	s_mul_f32 s15, s13, 0x3fc90fda
	s_clz_i32_u32 s12, s12
	s_min_u32 s12, s12, 32
	s_delay_alu instid0(SALU_CYCLE_1)
	s_not_b32 s14, s12
	s_add_co_i32 s12, s12, s8
	v_alignbit_b32 v1, v2, v1, s14
	s_xor_b32 s14, s15, 0x80000000
	s_lshl_b32 s12, s12, 23
	s_fmamk_f32 s14, s13, 0x3fc90fda, s14
	s_sub_co_i32 s4, s4, s12
	v_readfirstlane_b32 s8, v1
	s_delay_alu instid0(SALU_CYCLE_1) | instskip(SKIP_1) | instid1(SALU_CYCLE_1)
	s_fmamk_f32 s12, s13, 0x33a22168, s14
	s_lshr_b32 s8, s8, 9
	s_or_b32 s4, s4, s8
	s_lshr_b32 s8, s10, 30
	s_fmamk_f32 s4, s4, 0x3fc90fda, s12
	s_add_co_i32 s8, s11, s8
	s_delay_alu instid0(SALU_CYCLE_2)
	s_add_f32 s4, s15, s4
	s_cbranch_execz .LBB1_4
	s_branch .LBB1_5
.LBB1_3:
                                        ; implicit-def: $sgpr8
                                        ; implicit-def: $sgpr4
.LBB1_4:
	s_mul_f32 s4, s3, 0x3f22f983
	s_delay_alu instid0(SALU_CYCLE_3) | instskip(NEXT) | instid1(SALU_CYCLE_3)
	s_rndne_f32 s8, s4
	s_fmamk_f32 s4, s8, 0xbfc90fda, s3
	s_delay_alu instid0(SALU_CYCLE_3) | instskip(NEXT) | instid1(SALU_CYCLE_3)
	s_fmamk_f32 s4, s8, 0xb3a22168, s4
	s_fmamk_f32 s4, s8, 0xa7c234c4, s4
	s_cvt_i32_f32 s8, s8
.LBB1_5:
	s_wait_xcnt 0x0
	s_load_b64 s[0:1], s[0:1], 0x18
	v_dual_mov_b32 v4, s7 :: v_dual_ashrrev_i32 v1, 31, v0
	s_mul_f32 s9, s4, s4
	s_mov_b32 s10, 0xb94c1982
	s_mov_b32 s11, 0x37d75334
	s_mul_f32 s13, s6, s7
	s_fmaak_f32 s10, s9, s10, 0x3c0881c4
	s_fmaak_f32 s11, s9, s11, 0xbab64f3b
	v_mov_b32_e32 v5, s6
	s_lshl_b32 s12, s8, 30
	s_fmaak_f32 s10, s9, s10, 0xbe2aaa9d
	s_fmaak_f32 s11, s9, s11, 0x3d2aabf7
	s_and_b32 s8, s8, 1
	s_xor_b32 s3, s3, s5
	s_mul_f32 s10, s9, s10
	v_cmp_class_f32_e64 s5, s5, 0x1f8
	s_wait_kmcnt 0x0
	s_mul_f32 s14, s2, s2
	s_fmac_f32 s4, s4, s10
	v_lshl_add_u64 v[2:3], v[0:1], 4, s[0:1]
	global_load_b96 v[6:8], v[2:3], off
	s_wait_xcnt 0x0
	v_mov_b64_e32 v[2:3], s[6:7]
	s_fmaak_f32 s6, s9, s11, 0xbf000004
	s_and_b32 s7, s12, 0x80000000
	s_delay_alu instid0(SALU_CYCLE_2) | instskip(SKIP_2) | instid1(VALU_DEP_1)
	s_fmaak_f32 s6, s9, s6, 0x3f800000
	s_xor_b32 s9, s4, 0x80000000
	s_cmp_eq_u32 s8, 0
	v_pk_mul_f32 v[10:11], v[2:3], v[2:3]
	s_cselect_b32 s4, s4, s6
	v_pk_mul_f32 v[2:3], v[2:3], s[2:3] op_sel_hi:[1,0]
	s_cselect_b32 s6, s6, s9
	s_xor_b32 s3, s3, s4
	s_xor_b32 s4, s6, s7
	;; [unrolled: 1-line block ×3, first 2 shown]
	s_and_b32 s5, s5, exec_lo
	s_cselect_b32 s4, s4, 0x7fc00000
	s_cselect_b32 s6, s3, 0x7fc00000
	s_sub_f32 s8, 1.0, s4
	s_mul_f32 s2, s2, s6
	v_pk_mul_f32 v[4:5], v[4:5], s[6:7] op_sel_hi:[1,0]
	s_mov_b32 s3, s4
	s_mul_f32 s5, s13, s8
	s_xor_b32 s6, s2, 0x80000000
	s_fmac_f32 s3, s14, s8
	v_pk_fma_f32 v[12:13], v[2:3], s[8:9], v[4:5] op_sel_hi:[1,0,1]
	v_pk_fma_f32 v[10:11], v[10:11], s[8:9], s[4:5] op_sel_hi:[1,0,0]
	s_fmac_f32 s6, s13, s8
	s_add_f32 s2, s5, s2
	v_pk_fma_f32 v[2:3], v[2:3], s[8:9], v[4:5] op_sel_hi:[1,0,1] neg_lo:[0,0,1] neg_hi:[0,0,1]
	s_delay_alu instid0(SALU_CYCLE_1) | instskip(SKIP_4) | instid1(VALU_DEP_3)
	v_dual_mov_b32 v5, 0 :: v_dual_mov_b32 v15, s6
	s_wait_loadcnt 0x0
	v_dual_mov_b32 v14, s2 :: v_dual_mul_f32 v4, v6, v12
	v_pk_mul_f32 v[10:11], v[6:7], v[10:11]
	v_dual_mov_b32 v12, v2 :: v_dual_mov_b32 v2, v8
	v_fmac_f32_e32 v4, v7, v3
	s_delay_alu instid0(VALU_DEP_3) | instskip(NEXT) | instid1(VALU_DEP_2)
	v_pk_fma_f32 v[10:11], v[6:7], v[14:15], v[10:11] op_sel:[1,0,0] op_sel_hi:[0,1,1]
	v_fmac_f32_e32 v4, s3, v8
	s_delay_alu instid0(VALU_DEP_2)
	v_pk_fma_f32 v[2:3], v[2:3], v[12:13], v[10:11] op_sel_hi:[0,1,1]
	global_store_b128 v0, v[2:5], s[0:1] scale_offset
.LBB1_6:
	s_endpgm
	.section	.rodata,"a",@progbits
	.p2align	6, 0x0
	.amdhsa_kernel _Z7rotate2if15HIP_vector_typeIfLj3EEPS_IfLj4EE
		.amdhsa_group_segment_fixed_size 0
		.amdhsa_private_segment_fixed_size 0
		.amdhsa_kernarg_size 288
		.amdhsa_user_sgpr_count 2
		.amdhsa_user_sgpr_dispatch_ptr 0
		.amdhsa_user_sgpr_queue_ptr 0
		.amdhsa_user_sgpr_kernarg_segment_ptr 1
		.amdhsa_user_sgpr_dispatch_id 0
		.amdhsa_user_sgpr_kernarg_preload_length 0
		.amdhsa_user_sgpr_kernarg_preload_offset 0
		.amdhsa_user_sgpr_private_segment_size 0
		.amdhsa_wavefront_size32 1
		.amdhsa_uses_dynamic_stack 0
		.amdhsa_enable_private_segment 0
		.amdhsa_system_sgpr_workgroup_id_x 1
		.amdhsa_system_sgpr_workgroup_id_y 0
		.amdhsa_system_sgpr_workgroup_id_z 0
		.amdhsa_system_sgpr_workgroup_info 0
		.amdhsa_system_vgpr_workitem_id 0
		.amdhsa_next_free_vgpr 16
		.amdhsa_next_free_sgpr 26
		.amdhsa_named_barrier_count 0
		.amdhsa_reserve_vcc 0
		.amdhsa_float_round_mode_32 0
		.amdhsa_float_round_mode_16_64 0
		.amdhsa_float_denorm_mode_32 3
		.amdhsa_float_denorm_mode_16_64 3
		.amdhsa_fp16_overflow 0
		.amdhsa_memory_ordered 1
		.amdhsa_forward_progress 1
		.amdhsa_inst_pref_size 10
		.amdhsa_round_robin_scheduling 0
		.amdhsa_exception_fp_ieee_invalid_op 0
		.amdhsa_exception_fp_denorm_src 0
		.amdhsa_exception_fp_ieee_div_zero 0
		.amdhsa_exception_fp_ieee_overflow 0
		.amdhsa_exception_fp_ieee_underflow 0
		.amdhsa_exception_fp_ieee_inexact 0
		.amdhsa_exception_int_div_zero 0
	.end_amdhsa_kernel
	.text
.Lfunc_end1:
	.size	_Z7rotate2if15HIP_vector_typeIfLj3EEPS_IfLj4EE, .Lfunc_end1-_Z7rotate2if15HIP_vector_typeIfLj3EEPS_IfLj4EE
                                        ; -- End function
	.set _Z7rotate2if15HIP_vector_typeIfLj3EEPS_IfLj4EE.num_vgpr, 16
	.set _Z7rotate2if15HIP_vector_typeIfLj3EEPS_IfLj4EE.num_agpr, 0
	.set _Z7rotate2if15HIP_vector_typeIfLj3EEPS_IfLj4EE.numbered_sgpr, 26
	.set _Z7rotate2if15HIP_vector_typeIfLj3EEPS_IfLj4EE.num_named_barrier, 0
	.set _Z7rotate2if15HIP_vector_typeIfLj3EEPS_IfLj4EE.private_seg_size, 0
	.set _Z7rotate2if15HIP_vector_typeIfLj3EEPS_IfLj4EE.uses_vcc, 0
	.set _Z7rotate2if15HIP_vector_typeIfLj3EEPS_IfLj4EE.uses_flat_scratch, 0
	.set _Z7rotate2if15HIP_vector_typeIfLj3EEPS_IfLj4EE.has_dyn_sized_stack, 0
	.set _Z7rotate2if15HIP_vector_typeIfLj3EEPS_IfLj4EE.has_recursion, 0
	.set _Z7rotate2if15HIP_vector_typeIfLj3EEPS_IfLj4EE.has_indirect_call, 0
	.section	.AMDGPU.csdata,"",@progbits
; Kernel info:
; codeLenInByte = 1236
; TotalNumSgprs: 26
; NumVgprs: 16
; ScratchSize: 0
; MemoryBound: 0
; FloatMode: 240
; IeeeMode: 1
; LDSByteSize: 0 bytes/workgroup (compile time only)
; SGPRBlocks: 0
; VGPRBlocks: 0
; NumSGPRsForWavesPerEU: 26
; NumVGPRsForWavesPerEU: 16
; NamedBarCnt: 0
; Occupancy: 16
; WaveLimiterHint : 0
; COMPUTE_PGM_RSRC2:SCRATCH_EN: 0
; COMPUTE_PGM_RSRC2:USER_SGPR: 2
; COMPUTE_PGM_RSRC2:TRAP_HANDLER: 0
; COMPUTE_PGM_RSRC2:TGID_X_EN: 1
; COMPUTE_PGM_RSRC2:TGID_Y_EN: 0
; COMPUTE_PGM_RSRC2:TGID_Z_EN: 0
; COMPUTE_PGM_RSRC2:TIDIG_COMP_CNT: 0
	.text
	.p2alignl 7, 3214868480
	.fill 96, 4, 3214868480
	.section	.AMDGPU.gpr_maximums,"",@progbits
	.set amdgpu.max_num_vgpr, 0
	.set amdgpu.max_num_agpr, 0
	.set amdgpu.max_num_sgpr, 0
	.text
	.type	__hip_cuid_823855ade508974e,@object ; @__hip_cuid_823855ade508974e
	.section	.bss,"aw",@nobits
	.globl	__hip_cuid_823855ade508974e
__hip_cuid_823855ade508974e:
	.byte	0                               ; 0x0
	.size	__hip_cuid_823855ade508974e, 1

	.ident	"AMD clang version 22.0.0git (https://github.com/RadeonOpenCompute/llvm-project roc-7.2.4 26084 f58b06dce1f9c15707c5f808fd002e18c2accf7e)"
	.section	".note.GNU-stack","",@progbits
	.addrsig
	.addrsig_sym __hip_cuid_823855ade508974e
	.amdgpu_metadata
---
amdhsa.kernels:
  - .args:
      - .offset:         0
        .size:           4
        .value_kind:     by_value
      - .offset:         4
        .size:           4
        .value_kind:     by_value
      - .offset:         8
        .size:           12
        .value_kind:     by_value
      - .address_space:  global
        .offset:         24
        .size:           8
        .value_kind:     global_buffer
      - .offset:         32
        .size:           4
        .value_kind:     hidden_block_count_x
      - .offset:         36
        .size:           4
        .value_kind:     hidden_block_count_y
      - .offset:         40
        .size:           4
        .value_kind:     hidden_block_count_z
      - .offset:         44
        .size:           2
        .value_kind:     hidden_group_size_x
      - .offset:         46
        .size:           2
        .value_kind:     hidden_group_size_y
      - .offset:         48
        .size:           2
        .value_kind:     hidden_group_size_z
      - .offset:         50
        .size:           2
        .value_kind:     hidden_remainder_x
      - .offset:         52
        .size:           2
        .value_kind:     hidden_remainder_y
      - .offset:         54
        .size:           2
        .value_kind:     hidden_remainder_z
      - .offset:         72
        .size:           8
        .value_kind:     hidden_global_offset_x
      - .offset:         80
        .size:           8
        .value_kind:     hidden_global_offset_y
      - .offset:         88
        .size:           8
        .value_kind:     hidden_global_offset_z
      - .offset:         96
        .size:           2
        .value_kind:     hidden_grid_dims
    .group_segment_fixed_size: 0
    .kernarg_segment_align: 8
    .kernarg_segment_size: 288
    .language:       OpenCL C
    .language_version:
      - 2
      - 0
    .max_flat_workgroup_size: 1024
    .name:           _Z6rotateif15HIP_vector_typeIfLj3EEPS0_
    .private_segment_fixed_size: 0
    .sgpr_count:     26
    .sgpr_spill_count: 0
    .symbol:         _Z6rotateif15HIP_vector_typeIfLj3EEPS0_.kd
    .uniform_work_group_size: 1
    .uses_dynamic_stack: false
    .vgpr_count:     16
    .vgpr_spill_count: 0
    .wavefront_size: 32
  - .args:
      - .offset:         0
        .size:           4
        .value_kind:     by_value
      - .offset:         4
        .size:           4
        .value_kind:     by_value
      - .offset:         8
        .size:           12
        .value_kind:     by_value
      - .address_space:  global
        .offset:         24
        .size:           8
        .value_kind:     global_buffer
      - .offset:         32
        .size:           4
        .value_kind:     hidden_block_count_x
      - .offset:         36
        .size:           4
        .value_kind:     hidden_block_count_y
      - .offset:         40
        .size:           4
        .value_kind:     hidden_block_count_z
      - .offset:         44
        .size:           2
        .value_kind:     hidden_group_size_x
      - .offset:         46
        .size:           2
        .value_kind:     hidden_group_size_y
      - .offset:         48
        .size:           2
        .value_kind:     hidden_group_size_z
      - .offset:         50
        .size:           2
        .value_kind:     hidden_remainder_x
      - .offset:         52
        .size:           2
        .value_kind:     hidden_remainder_y
      - .offset:         54
        .size:           2
        .value_kind:     hidden_remainder_z
      - .offset:         72
        .size:           8
        .value_kind:     hidden_global_offset_x
      - .offset:         80
        .size:           8
        .value_kind:     hidden_global_offset_y
      - .offset:         88
        .size:           8
        .value_kind:     hidden_global_offset_z
      - .offset:         96
        .size:           2
        .value_kind:     hidden_grid_dims
    .group_segment_fixed_size: 0
    .kernarg_segment_align: 8
    .kernarg_segment_size: 288
    .language:       OpenCL C
    .language_version:
      - 2
      - 0
    .max_flat_workgroup_size: 1024
    .name:           _Z7rotate2if15HIP_vector_typeIfLj3EEPS_IfLj4EE
    .private_segment_fixed_size: 0
    .sgpr_count:     26
    .sgpr_spill_count: 0
    .symbol:         _Z7rotate2if15HIP_vector_typeIfLj3EEPS_IfLj4EE.kd
    .uniform_work_group_size: 1
    .uses_dynamic_stack: false
    .vgpr_count:     16
    .vgpr_spill_count: 0
    .wavefront_size: 32
amdhsa.target:   amdgcn-amd-amdhsa--gfx1250
amdhsa.version:
  - 1
  - 2
...

	.end_amdgpu_metadata
